;; amdgpu-corpus repo=ROCm/rocSOLVER kind=compiled arch=gfx906 opt=O3
	.amdgcn_target "amdgcn-amd-amdhsa--gfx906"
	.amdhsa_code_object_version 6
	.section	.text._ZN9rocsolver6v33100L12laswp_kernelIfiPKPfEEvT0_T1_lS5_S5_lS5_S5_PKS5_lS5_l,"axG",@progbits,_ZN9rocsolver6v33100L12laswp_kernelIfiPKPfEEvT0_T1_lS5_S5_lS5_S5_PKS5_lS5_l,comdat
	.globl	_ZN9rocsolver6v33100L12laswp_kernelIfiPKPfEEvT0_T1_lS5_S5_lS5_S5_PKS5_lS5_l ; -- Begin function _ZN9rocsolver6v33100L12laswp_kernelIfiPKPfEEvT0_T1_lS5_S5_lS5_S5_PKS5_lS5_l
	.p2align	8
	.type	_ZN9rocsolver6v33100L12laswp_kernelIfiPKPfEEvT0_T1_lS5_S5_lS5_S5_PKS5_lS5_l,@function
_ZN9rocsolver6v33100L12laswp_kernelIfiPKPfEEvT0_T1_lS5_S5_lS5_S5_PKS5_lS5_l: ; @_ZN9rocsolver6v33100L12laswp_kernelIfiPKPfEEvT0_T1_lS5_S5_lS5_S5_PKS5_lS5_l
; %bb.0:
	s_load_dword s0, s[4:5], 0x5c
	s_load_dword s1, s[4:5], 0x0
	s_waitcnt lgkmcnt(0)
	s_and_b32 s0, s0, 0xffff
	s_mul_i32 s6, s6, s0
	v_add_u32_e32 v0, s6, v0
	v_cmp_gt_i32_e32 vcc, s1, v0
	s_and_saveexec_b64 s[0:1], vcc
	s_cbranch_execz .LBB0_10
; %bb.1:
	s_mov_b32 s8, s7
	s_load_dwordx4 s[0:3], s[4:5], 0x8
	s_load_dwordx2 s[6:7], s[4:5], 0x28
	s_load_dword s15, s[4:5], 0x40
	s_ashr_i32 s9, s8, 31
	s_lshl_b64 s[10:11], s[8:9], 3
	s_waitcnt lgkmcnt(0)
	s_add_u32 s10, s0, s10
	s_addc_u32 s11, s1, s11
	s_cmp_gt_i32 s15, -1
	s_cbranch_scc0 .LBB0_3
; %bb.2:
	s_add_i32 s12, s7, 1
	s_mov_b32 s13, 1
	s_mov_b32 s14, s6
	s_cbranch_execz .LBB0_4
	s_branch .LBB0_5
.LBB0_3:
                                        ; implicit-def: $sgpr12
	s_mov_b32 s13, 1
	s_mov_b32 s14, s6
.LBB0_4:
	s_mov_b32 s13, -1
	s_add_i32 s12, s6, -1
	s_sub_i32 s15, 0, s15
	s_mov_b32 s14, s7
.LBB0_5:
	s_cmp_eq_u32 s14, s12
	s_cbranch_scc1 .LBB0_10
; %bb.6:
	s_load_dwordx2 s[20:21], s[4:5], 0x48
	s_load_dwordx2 s[22:23], s[10:11], 0x0
	;; [unrolled: 1-line block ×3, first 2 shown]
	s_load_dwordx4 s[16:19], s[4:5], 0x30
	s_waitcnt lgkmcnt(0)
	s_mul_i32 s4, s20, s9
	s_mul_hi_u32 s5, s20, s8
	s_add_i32 s4, s5, s4
	s_mul_i32 s5, s21, s8
	s_add_i32 s5, s4, s5
	s_mul_i32 s4, s20, s8
	s_lshl_b64 s[4:5], s[4:5], 2
	s_add_u32 s7, s16, s4
	s_addc_u32 s8, s17, s5
	s_lshl_b64 s[4:5], s[18:19], 2
	s_add_u32 s4, s7, s4
	s_addc_u32 s5, s8, s5
	s_lshl_b64 s[2:3], s[2:3], 2
	v_mul_lo_u32 v2, v0, s1
	s_add_u32 s7, s22, s2
	s_addc_u32 s1, s23, s3
	s_add_i32 s2, s14, -1
	s_mul_i32 s2, s0, s2
	v_add_u32_e32 v0, s2, v2
	s_sub_i32 s2, s14, s6
	s_mul_i32 s2, s15, s2
	s_mul_i32 s8, s13, s0
	s_add_i32 s2, s6, s2
	s_mul_i32 s6, s15, s13
	s_branch .LBB0_8
.LBB0_7:                                ;   in Loop: Header=BB0_8 Depth=1
	s_add_i32 s14, s14, s13
	s_add_i32 s2, s2, s6
	s_cmp_lg_u32 s12, s14
	v_add_u32_e32 v0, s8, v0
	s_cbranch_scc0 .LBB0_10
.LBB0_8:                                ; =>This Inner Loop Header: Depth=1
	s_ashr_i32 s3, s2, 31
	s_lshl_b64 s[10:11], s[2:3], 2
	s_add_u32 s3, s4, s10
	s_addc_u32 s9, s5, s11
	s_add_u32 s10, s3, -4
	s_addc_u32 s11, s9, -1
	s_load_dword s3, s[10:11], 0x0
	s_waitcnt lgkmcnt(0)
	s_cmp_eq_u32 s14, s3
	s_cbranch_scc1 .LBB0_7
; %bb.9:                                ;   in Loop: Header=BB0_8 Depth=1
	s_add_i32 s3, s3, -1
	v_ashrrev_i32_e32 v1, 31, v0
	s_mul_i32 s3, s3, s0
	v_lshlrev_b64 v[3:4], 2, v[0:1]
	v_add_u32_e32 v5, s3, v2
	v_ashrrev_i32_e32 v6, 31, v5
	v_mov_b32_e32 v1, s1
	v_add_co_u32_e32 v3, vcc, s7, v3
	v_lshlrev_b64 v[5:6], 2, v[5:6]
	v_addc_co_u32_e32 v4, vcc, v1, v4, vcc
	v_add_co_u32_e32 v5, vcc, s7, v5
	v_addc_co_u32_e32 v6, vcc, v1, v6, vcc
	flat_load_dword v1, v[5:6]
	flat_load_dword v7, v[3:4]
	s_waitcnt vmcnt(0) lgkmcnt(0)
	flat_store_dword v[3:4], v1
	flat_store_dword v[5:6], v7
	s_branch .LBB0_7
.LBB0_10:
	s_endpgm
	.section	.rodata,"a",@progbits
	.p2align	6, 0x0
	.amdhsa_kernel _ZN9rocsolver6v33100L12laswp_kernelIfiPKPfEEvT0_T1_lS5_S5_lS5_S5_PKS5_lS5_l
		.amdhsa_group_segment_fixed_size 0
		.amdhsa_private_segment_fixed_size 0
		.amdhsa_kernarg_size 336
		.amdhsa_user_sgpr_count 6
		.amdhsa_user_sgpr_private_segment_buffer 1
		.amdhsa_user_sgpr_dispatch_ptr 0
		.amdhsa_user_sgpr_queue_ptr 0
		.amdhsa_user_sgpr_kernarg_segment_ptr 1
		.amdhsa_user_sgpr_dispatch_id 0
		.amdhsa_user_sgpr_flat_scratch_init 0
		.amdhsa_user_sgpr_private_segment_size 0
		.amdhsa_uses_dynamic_stack 0
		.amdhsa_system_sgpr_private_segment_wavefront_offset 0
		.amdhsa_system_sgpr_workgroup_id_x 1
		.amdhsa_system_sgpr_workgroup_id_y 1
		.amdhsa_system_sgpr_workgroup_id_z 0
		.amdhsa_system_sgpr_workgroup_info 0
		.amdhsa_system_vgpr_workitem_id 0
		.amdhsa_next_free_vgpr 8
		.amdhsa_next_free_sgpr 24
		.amdhsa_reserve_vcc 1
		.amdhsa_reserve_flat_scratch 0
		.amdhsa_float_round_mode_32 0
		.amdhsa_float_round_mode_16_64 0
		.amdhsa_float_denorm_mode_32 3
		.amdhsa_float_denorm_mode_16_64 3
		.amdhsa_dx10_clamp 1
		.amdhsa_ieee_mode 1
		.amdhsa_fp16_overflow 0
		.amdhsa_exception_fp_ieee_invalid_op 0
		.amdhsa_exception_fp_denorm_src 0
		.amdhsa_exception_fp_ieee_div_zero 0
		.amdhsa_exception_fp_ieee_overflow 0
		.amdhsa_exception_fp_ieee_underflow 0
		.amdhsa_exception_fp_ieee_inexact 0
		.amdhsa_exception_int_div_zero 0
	.end_amdhsa_kernel
	.section	.text._ZN9rocsolver6v33100L12laswp_kernelIfiPKPfEEvT0_T1_lS5_S5_lS5_S5_PKS5_lS5_l,"axG",@progbits,_ZN9rocsolver6v33100L12laswp_kernelIfiPKPfEEvT0_T1_lS5_S5_lS5_S5_PKS5_lS5_l,comdat
.Lfunc_end0:
	.size	_ZN9rocsolver6v33100L12laswp_kernelIfiPKPfEEvT0_T1_lS5_S5_lS5_S5_PKS5_lS5_l, .Lfunc_end0-_ZN9rocsolver6v33100L12laswp_kernelIfiPKPfEEvT0_T1_lS5_S5_lS5_S5_PKS5_lS5_l
                                        ; -- End function
	.set _ZN9rocsolver6v33100L12laswp_kernelIfiPKPfEEvT0_T1_lS5_S5_lS5_S5_PKS5_lS5_l.num_vgpr, 8
	.set _ZN9rocsolver6v33100L12laswp_kernelIfiPKPfEEvT0_T1_lS5_S5_lS5_S5_PKS5_lS5_l.num_agpr, 0
	.set _ZN9rocsolver6v33100L12laswp_kernelIfiPKPfEEvT0_T1_lS5_S5_lS5_S5_PKS5_lS5_l.numbered_sgpr, 24
	.set _ZN9rocsolver6v33100L12laswp_kernelIfiPKPfEEvT0_T1_lS5_S5_lS5_S5_PKS5_lS5_l.num_named_barrier, 0
	.set _ZN9rocsolver6v33100L12laswp_kernelIfiPKPfEEvT0_T1_lS5_S5_lS5_S5_PKS5_lS5_l.private_seg_size, 0
	.set _ZN9rocsolver6v33100L12laswp_kernelIfiPKPfEEvT0_T1_lS5_S5_lS5_S5_PKS5_lS5_l.uses_vcc, 1
	.set _ZN9rocsolver6v33100L12laswp_kernelIfiPKPfEEvT0_T1_lS5_S5_lS5_S5_PKS5_lS5_l.uses_flat_scratch, 0
	.set _ZN9rocsolver6v33100L12laswp_kernelIfiPKPfEEvT0_T1_lS5_S5_lS5_S5_PKS5_lS5_l.has_dyn_sized_stack, 0
	.set _ZN9rocsolver6v33100L12laswp_kernelIfiPKPfEEvT0_T1_lS5_S5_lS5_S5_PKS5_lS5_l.has_recursion, 0
	.set _ZN9rocsolver6v33100L12laswp_kernelIfiPKPfEEvT0_T1_lS5_S5_lS5_S5_PKS5_lS5_l.has_indirect_call, 0
	.section	.AMDGPU.csdata,"",@progbits
; Kernel info:
; codeLenInByte = 460
; TotalNumSgprs: 28
; NumVgprs: 8
; ScratchSize: 0
; MemoryBound: 0
; FloatMode: 240
; IeeeMode: 1
; LDSByteSize: 0 bytes/workgroup (compile time only)
; SGPRBlocks: 3
; VGPRBlocks: 1
; NumSGPRsForWavesPerEU: 28
; NumVGPRsForWavesPerEU: 8
; Occupancy: 10
; WaveLimiterHint : 1
; COMPUTE_PGM_RSRC2:SCRATCH_EN: 0
; COMPUTE_PGM_RSRC2:USER_SGPR: 6
; COMPUTE_PGM_RSRC2:TRAP_HANDLER: 0
; COMPUTE_PGM_RSRC2:TGID_X_EN: 1
; COMPUTE_PGM_RSRC2:TGID_Y_EN: 1
; COMPUTE_PGM_RSRC2:TGID_Z_EN: 0
; COMPUTE_PGM_RSRC2:TIDIG_COMP_CNT: 0
	.section	.text._ZN9rocsolver6v33100L12laswp_kernelIdiPKPdEEvT0_T1_lS5_S5_lS5_S5_PKS5_lS5_l,"axG",@progbits,_ZN9rocsolver6v33100L12laswp_kernelIdiPKPdEEvT0_T1_lS5_S5_lS5_S5_PKS5_lS5_l,comdat
	.globl	_ZN9rocsolver6v33100L12laswp_kernelIdiPKPdEEvT0_T1_lS5_S5_lS5_S5_PKS5_lS5_l ; -- Begin function _ZN9rocsolver6v33100L12laswp_kernelIdiPKPdEEvT0_T1_lS5_S5_lS5_S5_PKS5_lS5_l
	.p2align	8
	.type	_ZN9rocsolver6v33100L12laswp_kernelIdiPKPdEEvT0_T1_lS5_S5_lS5_S5_PKS5_lS5_l,@function
_ZN9rocsolver6v33100L12laswp_kernelIdiPKPdEEvT0_T1_lS5_S5_lS5_S5_PKS5_lS5_l: ; @_ZN9rocsolver6v33100L12laswp_kernelIdiPKPdEEvT0_T1_lS5_S5_lS5_S5_PKS5_lS5_l
; %bb.0:
	s_load_dword s0, s[4:5], 0x5c
	s_load_dword s1, s[4:5], 0x0
	s_waitcnt lgkmcnt(0)
	s_and_b32 s0, s0, 0xffff
	s_mul_i32 s6, s6, s0
	v_add_u32_e32 v0, s6, v0
	v_cmp_gt_i32_e32 vcc, s1, v0
	s_and_saveexec_b64 s[0:1], vcc
	s_cbranch_execz .LBB1_10
; %bb.1:
	s_mov_b32 s8, s7
	s_load_dwordx4 s[0:3], s[4:5], 0x8
	s_load_dwordx2 s[6:7], s[4:5], 0x28
	s_load_dword s15, s[4:5], 0x40
	s_ashr_i32 s9, s8, 31
	s_lshl_b64 s[10:11], s[8:9], 3
	s_waitcnt lgkmcnt(0)
	s_add_u32 s10, s0, s10
	s_addc_u32 s11, s1, s11
	s_cmp_gt_i32 s15, -1
	s_cbranch_scc0 .LBB1_3
; %bb.2:
	s_add_i32 s12, s7, 1
	s_mov_b32 s13, 1
	s_mov_b32 s14, s6
	s_cbranch_execz .LBB1_4
	s_branch .LBB1_5
.LBB1_3:
                                        ; implicit-def: $sgpr12
	s_mov_b32 s13, 1
	s_mov_b32 s14, s6
.LBB1_4:
	s_mov_b32 s13, -1
	s_add_i32 s12, s6, -1
	s_sub_i32 s15, 0, s15
	s_mov_b32 s14, s7
.LBB1_5:
	s_cmp_eq_u32 s14, s12
	s_cbranch_scc1 .LBB1_10
; %bb.6:
	s_load_dwordx2 s[20:21], s[4:5], 0x48
	s_load_dwordx2 s[22:23], s[10:11], 0x0
	;; [unrolled: 1-line block ×3, first 2 shown]
	s_load_dwordx4 s[16:19], s[4:5], 0x30
	s_waitcnt lgkmcnt(0)
	s_mul_i32 s4, s20, s9
	s_mul_hi_u32 s5, s20, s8
	s_add_i32 s4, s5, s4
	s_mul_i32 s5, s21, s8
	s_add_i32 s5, s4, s5
	s_mul_i32 s4, s20, s8
	s_lshl_b64 s[4:5], s[4:5], 2
	s_add_u32 s7, s16, s4
	s_addc_u32 s8, s17, s5
	s_lshl_b64 s[4:5], s[18:19], 2
	s_add_u32 s4, s7, s4
	s_addc_u32 s5, s8, s5
	s_lshl_b64 s[2:3], s[2:3], 3
	v_mul_lo_u32 v2, v0, s1
	s_add_u32 s7, s22, s2
	s_addc_u32 s1, s23, s3
	s_add_i32 s2, s14, -1
	s_mul_i32 s2, s0, s2
	v_add_u32_e32 v0, s2, v2
	s_sub_i32 s2, s14, s6
	s_mul_i32 s2, s15, s2
	s_mul_i32 s8, s13, s0
	s_add_i32 s2, s6, s2
	s_mul_i32 s6, s15, s13
	s_branch .LBB1_8
.LBB1_7:                                ;   in Loop: Header=BB1_8 Depth=1
	s_add_i32 s14, s14, s13
	s_add_i32 s2, s2, s6
	s_cmp_lg_u32 s12, s14
	v_add_u32_e32 v0, s8, v0
	s_cbranch_scc0 .LBB1_10
.LBB1_8:                                ; =>This Inner Loop Header: Depth=1
	s_ashr_i32 s3, s2, 31
	s_lshl_b64 s[10:11], s[2:3], 2
	s_add_u32 s3, s4, s10
	s_addc_u32 s9, s5, s11
	s_add_u32 s10, s3, -4
	s_addc_u32 s11, s9, -1
	s_load_dword s3, s[10:11], 0x0
	s_waitcnt lgkmcnt(0)
	s_cmp_eq_u32 s14, s3
	s_cbranch_scc1 .LBB1_7
; %bb.9:                                ;   in Loop: Header=BB1_8 Depth=1
	s_add_i32 s3, s3, -1
	v_ashrrev_i32_e32 v1, 31, v0
	s_mul_i32 s3, s3, s0
	v_lshlrev_b64 v[3:4], 3, v[0:1]
	v_add_u32_e32 v5, s3, v2
	v_ashrrev_i32_e32 v6, 31, v5
	v_mov_b32_e32 v1, s1
	v_add_co_u32_e32 v3, vcc, s7, v3
	v_lshlrev_b64 v[5:6], 3, v[5:6]
	v_addc_co_u32_e32 v4, vcc, v1, v4, vcc
	v_add_co_u32_e32 v5, vcc, s7, v5
	v_addc_co_u32_e32 v6, vcc, v1, v6, vcc
	flat_load_dwordx2 v[7:8], v[5:6]
	flat_load_dwordx2 v[9:10], v[3:4]
	s_waitcnt vmcnt(0) lgkmcnt(0)
	flat_store_dwordx2 v[3:4], v[7:8]
	flat_store_dwordx2 v[5:6], v[9:10]
	s_branch .LBB1_7
.LBB1_10:
	s_endpgm
	.section	.rodata,"a",@progbits
	.p2align	6, 0x0
	.amdhsa_kernel _ZN9rocsolver6v33100L12laswp_kernelIdiPKPdEEvT0_T1_lS5_S5_lS5_S5_PKS5_lS5_l
		.amdhsa_group_segment_fixed_size 0
		.amdhsa_private_segment_fixed_size 0
		.amdhsa_kernarg_size 336
		.amdhsa_user_sgpr_count 6
		.amdhsa_user_sgpr_private_segment_buffer 1
		.amdhsa_user_sgpr_dispatch_ptr 0
		.amdhsa_user_sgpr_queue_ptr 0
		.amdhsa_user_sgpr_kernarg_segment_ptr 1
		.amdhsa_user_sgpr_dispatch_id 0
		.amdhsa_user_sgpr_flat_scratch_init 0
		.amdhsa_user_sgpr_private_segment_size 0
		.amdhsa_uses_dynamic_stack 0
		.amdhsa_system_sgpr_private_segment_wavefront_offset 0
		.amdhsa_system_sgpr_workgroup_id_x 1
		.amdhsa_system_sgpr_workgroup_id_y 1
		.amdhsa_system_sgpr_workgroup_id_z 0
		.amdhsa_system_sgpr_workgroup_info 0
		.amdhsa_system_vgpr_workitem_id 0
		.amdhsa_next_free_vgpr 11
		.amdhsa_next_free_sgpr 24
		.amdhsa_reserve_vcc 1
		.amdhsa_reserve_flat_scratch 0
		.amdhsa_float_round_mode_32 0
		.amdhsa_float_round_mode_16_64 0
		.amdhsa_float_denorm_mode_32 3
		.amdhsa_float_denorm_mode_16_64 3
		.amdhsa_dx10_clamp 1
		.amdhsa_ieee_mode 1
		.amdhsa_fp16_overflow 0
		.amdhsa_exception_fp_ieee_invalid_op 0
		.amdhsa_exception_fp_denorm_src 0
		.amdhsa_exception_fp_ieee_div_zero 0
		.amdhsa_exception_fp_ieee_overflow 0
		.amdhsa_exception_fp_ieee_underflow 0
		.amdhsa_exception_fp_ieee_inexact 0
		.amdhsa_exception_int_div_zero 0
	.end_amdhsa_kernel
	.section	.text._ZN9rocsolver6v33100L12laswp_kernelIdiPKPdEEvT0_T1_lS5_S5_lS5_S5_PKS5_lS5_l,"axG",@progbits,_ZN9rocsolver6v33100L12laswp_kernelIdiPKPdEEvT0_T1_lS5_S5_lS5_S5_PKS5_lS5_l,comdat
.Lfunc_end1:
	.size	_ZN9rocsolver6v33100L12laswp_kernelIdiPKPdEEvT0_T1_lS5_S5_lS5_S5_PKS5_lS5_l, .Lfunc_end1-_ZN9rocsolver6v33100L12laswp_kernelIdiPKPdEEvT0_T1_lS5_S5_lS5_S5_PKS5_lS5_l
                                        ; -- End function
	.set _ZN9rocsolver6v33100L12laswp_kernelIdiPKPdEEvT0_T1_lS5_S5_lS5_S5_PKS5_lS5_l.num_vgpr, 11
	.set _ZN9rocsolver6v33100L12laswp_kernelIdiPKPdEEvT0_T1_lS5_S5_lS5_S5_PKS5_lS5_l.num_agpr, 0
	.set _ZN9rocsolver6v33100L12laswp_kernelIdiPKPdEEvT0_T1_lS5_S5_lS5_S5_PKS5_lS5_l.numbered_sgpr, 24
	.set _ZN9rocsolver6v33100L12laswp_kernelIdiPKPdEEvT0_T1_lS5_S5_lS5_S5_PKS5_lS5_l.num_named_barrier, 0
	.set _ZN9rocsolver6v33100L12laswp_kernelIdiPKPdEEvT0_T1_lS5_S5_lS5_S5_PKS5_lS5_l.private_seg_size, 0
	.set _ZN9rocsolver6v33100L12laswp_kernelIdiPKPdEEvT0_T1_lS5_S5_lS5_S5_PKS5_lS5_l.uses_vcc, 1
	.set _ZN9rocsolver6v33100L12laswp_kernelIdiPKPdEEvT0_T1_lS5_S5_lS5_S5_PKS5_lS5_l.uses_flat_scratch, 0
	.set _ZN9rocsolver6v33100L12laswp_kernelIdiPKPdEEvT0_T1_lS5_S5_lS5_S5_PKS5_lS5_l.has_dyn_sized_stack, 0
	.set _ZN9rocsolver6v33100L12laswp_kernelIdiPKPdEEvT0_T1_lS5_S5_lS5_S5_PKS5_lS5_l.has_recursion, 0
	.set _ZN9rocsolver6v33100L12laswp_kernelIdiPKPdEEvT0_T1_lS5_S5_lS5_S5_PKS5_lS5_l.has_indirect_call, 0
	.section	.AMDGPU.csdata,"",@progbits
; Kernel info:
; codeLenInByte = 460
; TotalNumSgprs: 28
; NumVgprs: 11
; ScratchSize: 0
; MemoryBound: 0
; FloatMode: 240
; IeeeMode: 1
; LDSByteSize: 0 bytes/workgroup (compile time only)
; SGPRBlocks: 3
; VGPRBlocks: 2
; NumSGPRsForWavesPerEU: 28
; NumVGPRsForWavesPerEU: 11
; Occupancy: 10
; WaveLimiterHint : 1
; COMPUTE_PGM_RSRC2:SCRATCH_EN: 0
; COMPUTE_PGM_RSRC2:USER_SGPR: 6
; COMPUTE_PGM_RSRC2:TRAP_HANDLER: 0
; COMPUTE_PGM_RSRC2:TGID_X_EN: 1
; COMPUTE_PGM_RSRC2:TGID_Y_EN: 1
; COMPUTE_PGM_RSRC2:TGID_Z_EN: 0
; COMPUTE_PGM_RSRC2:TIDIG_COMP_CNT: 0
	.section	.text._ZN9rocsolver6v33100L12laswp_kernelI19rocblas_complex_numIfEiPKPS3_EEvT0_T1_lS7_S7_lS7_S7_PKS7_lS7_l,"axG",@progbits,_ZN9rocsolver6v33100L12laswp_kernelI19rocblas_complex_numIfEiPKPS3_EEvT0_T1_lS7_S7_lS7_S7_PKS7_lS7_l,comdat
	.globl	_ZN9rocsolver6v33100L12laswp_kernelI19rocblas_complex_numIfEiPKPS3_EEvT0_T1_lS7_S7_lS7_S7_PKS7_lS7_l ; -- Begin function _ZN9rocsolver6v33100L12laswp_kernelI19rocblas_complex_numIfEiPKPS3_EEvT0_T1_lS7_S7_lS7_S7_PKS7_lS7_l
	.p2align	8
	.type	_ZN9rocsolver6v33100L12laswp_kernelI19rocblas_complex_numIfEiPKPS3_EEvT0_T1_lS7_S7_lS7_S7_PKS7_lS7_l,@function
_ZN9rocsolver6v33100L12laswp_kernelI19rocblas_complex_numIfEiPKPS3_EEvT0_T1_lS7_S7_lS7_S7_PKS7_lS7_l: ; @_ZN9rocsolver6v33100L12laswp_kernelI19rocblas_complex_numIfEiPKPS3_EEvT0_T1_lS7_S7_lS7_S7_PKS7_lS7_l
; %bb.0:
	s_load_dword s0, s[4:5], 0x5c
	s_load_dword s1, s[4:5], 0x0
	s_waitcnt lgkmcnt(0)
	s_and_b32 s0, s0, 0xffff
	s_mul_i32 s6, s6, s0
	v_add_u32_e32 v0, s6, v0
	v_cmp_gt_i32_e32 vcc, s1, v0
	s_and_saveexec_b64 s[0:1], vcc
	s_cbranch_execz .LBB2_10
; %bb.1:
	s_mov_b32 s8, s7
	s_load_dwordx4 s[0:3], s[4:5], 0x8
	s_load_dwordx2 s[6:7], s[4:5], 0x28
	s_load_dword s15, s[4:5], 0x40
	s_ashr_i32 s9, s8, 31
	s_lshl_b64 s[10:11], s[8:9], 3
	s_waitcnt lgkmcnt(0)
	s_add_u32 s10, s0, s10
	s_addc_u32 s11, s1, s11
	s_cmp_gt_i32 s15, -1
	s_cbranch_scc0 .LBB2_3
; %bb.2:
	s_add_i32 s12, s7, 1
	s_mov_b32 s13, 1
	s_mov_b32 s14, s6
	s_cbranch_execz .LBB2_4
	s_branch .LBB2_5
.LBB2_3:
                                        ; implicit-def: $sgpr12
	s_mov_b32 s13, 1
	s_mov_b32 s14, s6
.LBB2_4:
	s_mov_b32 s13, -1
	s_add_i32 s12, s6, -1
	s_sub_i32 s15, 0, s15
	s_mov_b32 s14, s7
.LBB2_5:
	s_cmp_eq_u32 s14, s12
	s_cbranch_scc1 .LBB2_10
; %bb.6:
	s_load_dwordx2 s[20:21], s[4:5], 0x48
	s_load_dwordx2 s[22:23], s[10:11], 0x0
	;; [unrolled: 1-line block ×3, first 2 shown]
	s_load_dwordx4 s[16:19], s[4:5], 0x30
	v_mov_b32_e32 v3, 0
	s_waitcnt lgkmcnt(0)
	s_mul_i32 s4, s20, s9
	s_mul_hi_u32 s5, s20, s8
	s_add_i32 s4, s5, s4
	s_mul_i32 s5, s21, s8
	s_add_i32 s5, s4, s5
	s_mul_i32 s4, s20, s8
	s_lshl_b64 s[4:5], s[4:5], 2
	s_add_u32 s7, s16, s4
	s_addc_u32 s8, s17, s5
	s_lshl_b64 s[4:5], s[18:19], 2
	s_add_u32 s4, s7, s4
	s_addc_u32 s5, s8, s5
	s_lshl_b64 s[2:3], s[2:3], 3
	v_mul_lo_u32 v2, v0, s1
	s_add_u32 s7, s22, s2
	s_addc_u32 s1, s23, s3
	s_add_i32 s2, s14, -1
	s_mul_i32 s2, s0, s2
	v_add_u32_e32 v0, s2, v2
	s_sub_i32 s2, s14, s6
	s_mul_i32 s2, s15, s2
	s_mul_i32 s8, s13, s0
	s_add_i32 s2, s6, s2
	s_mul_i32 s6, s15, s13
	s_branch .LBB2_8
.LBB2_7:                                ;   in Loop: Header=BB2_8 Depth=1
	s_add_i32 s14, s14, s13
	s_add_i32 s2, s2, s6
	s_cmp_lg_u32 s12, s14
	v_add_u32_e32 v0, s8, v0
	s_cbranch_scc0 .LBB2_10
.LBB2_8:                                ; =>This Inner Loop Header: Depth=1
	s_ashr_i32 s3, s2, 31
	s_lshl_b64 s[10:11], s[2:3], 2
	s_add_u32 s10, s4, s10
	s_addc_u32 s11, s5, s11
	global_load_dword v4, v3, s[10:11] offset:-4
	s_waitcnt vmcnt(0)
	v_cmp_eq_u32_e32 vcc, s14, v4
	s_cbranch_vccnz .LBB2_7
; %bb.9:                                ;   in Loop: Header=BB2_8 Depth=1
	v_add_u32_e32 v4, -1, v4
	v_ashrrev_i32_e32 v1, 31, v0
	v_mul_lo_u32 v7, v4, s0
	v_lshlrev_b64 v[5:6], 3, v[0:1]
	v_mov_b32_e32 v1, s1
	v_add_co_u32_e32 v4, vcc, s7, v5
	v_addc_co_u32_e32 v5, vcc, v1, v6, vcc
	v_add_u32_e32 v6, v7, v2
	v_ashrrev_i32_e32 v7, 31, v6
	v_lshlrev_b64 v[6:7], 3, v[6:7]
	v_add_co_u32_e32 v6, vcc, s7, v6
	v_addc_co_u32_e32 v7, vcc, v1, v7, vcc
	flat_load_dwordx2 v[8:9], v[6:7]
	flat_load_dwordx2 v[10:11], v[4:5]
	s_waitcnt vmcnt(0) lgkmcnt(0)
	flat_store_dwordx2 v[4:5], v[8:9]
	flat_store_dwordx2 v[6:7], v[10:11]
	s_branch .LBB2_7
.LBB2_10:
	s_endpgm
	.section	.rodata,"a",@progbits
	.p2align	6, 0x0
	.amdhsa_kernel _ZN9rocsolver6v33100L12laswp_kernelI19rocblas_complex_numIfEiPKPS3_EEvT0_T1_lS7_S7_lS7_S7_PKS7_lS7_l
		.amdhsa_group_segment_fixed_size 0
		.amdhsa_private_segment_fixed_size 0
		.amdhsa_kernarg_size 336
		.amdhsa_user_sgpr_count 6
		.amdhsa_user_sgpr_private_segment_buffer 1
		.amdhsa_user_sgpr_dispatch_ptr 0
		.amdhsa_user_sgpr_queue_ptr 0
		.amdhsa_user_sgpr_kernarg_segment_ptr 1
		.amdhsa_user_sgpr_dispatch_id 0
		.amdhsa_user_sgpr_flat_scratch_init 0
		.amdhsa_user_sgpr_private_segment_size 0
		.amdhsa_uses_dynamic_stack 0
		.amdhsa_system_sgpr_private_segment_wavefront_offset 0
		.amdhsa_system_sgpr_workgroup_id_x 1
		.amdhsa_system_sgpr_workgroup_id_y 1
		.amdhsa_system_sgpr_workgroup_id_z 0
		.amdhsa_system_sgpr_workgroup_info 0
		.amdhsa_system_vgpr_workitem_id 0
		.amdhsa_next_free_vgpr 12
		.amdhsa_next_free_sgpr 24
		.amdhsa_reserve_vcc 1
		.amdhsa_reserve_flat_scratch 0
		.amdhsa_float_round_mode_32 0
		.amdhsa_float_round_mode_16_64 0
		.amdhsa_float_denorm_mode_32 3
		.amdhsa_float_denorm_mode_16_64 3
		.amdhsa_dx10_clamp 1
		.amdhsa_ieee_mode 1
		.amdhsa_fp16_overflow 0
		.amdhsa_exception_fp_ieee_invalid_op 0
		.amdhsa_exception_fp_denorm_src 0
		.amdhsa_exception_fp_ieee_div_zero 0
		.amdhsa_exception_fp_ieee_overflow 0
		.amdhsa_exception_fp_ieee_underflow 0
		.amdhsa_exception_fp_ieee_inexact 0
		.amdhsa_exception_int_div_zero 0
	.end_amdhsa_kernel
	.section	.text._ZN9rocsolver6v33100L12laswp_kernelI19rocblas_complex_numIfEiPKPS3_EEvT0_T1_lS7_S7_lS7_S7_PKS7_lS7_l,"axG",@progbits,_ZN9rocsolver6v33100L12laswp_kernelI19rocblas_complex_numIfEiPKPS3_EEvT0_T1_lS7_S7_lS7_S7_PKS7_lS7_l,comdat
.Lfunc_end2:
	.size	_ZN9rocsolver6v33100L12laswp_kernelI19rocblas_complex_numIfEiPKPS3_EEvT0_T1_lS7_S7_lS7_S7_PKS7_lS7_l, .Lfunc_end2-_ZN9rocsolver6v33100L12laswp_kernelI19rocblas_complex_numIfEiPKPS3_EEvT0_T1_lS7_S7_lS7_S7_PKS7_lS7_l
                                        ; -- End function
	.set _ZN9rocsolver6v33100L12laswp_kernelI19rocblas_complex_numIfEiPKPS3_EEvT0_T1_lS7_S7_lS7_S7_PKS7_lS7_l.num_vgpr, 12
	.set _ZN9rocsolver6v33100L12laswp_kernelI19rocblas_complex_numIfEiPKPS3_EEvT0_T1_lS7_S7_lS7_S7_PKS7_lS7_l.num_agpr, 0
	.set _ZN9rocsolver6v33100L12laswp_kernelI19rocblas_complex_numIfEiPKPS3_EEvT0_T1_lS7_S7_lS7_S7_PKS7_lS7_l.numbered_sgpr, 24
	.set _ZN9rocsolver6v33100L12laswp_kernelI19rocblas_complex_numIfEiPKPS3_EEvT0_T1_lS7_S7_lS7_S7_PKS7_lS7_l.num_named_barrier, 0
	.set _ZN9rocsolver6v33100L12laswp_kernelI19rocblas_complex_numIfEiPKPS3_EEvT0_T1_lS7_S7_lS7_S7_PKS7_lS7_l.private_seg_size, 0
	.set _ZN9rocsolver6v33100L12laswp_kernelI19rocblas_complex_numIfEiPKPS3_EEvT0_T1_lS7_S7_lS7_S7_PKS7_lS7_l.uses_vcc, 1
	.set _ZN9rocsolver6v33100L12laswp_kernelI19rocblas_complex_numIfEiPKPS3_EEvT0_T1_lS7_S7_lS7_S7_PKS7_lS7_l.uses_flat_scratch, 0
	.set _ZN9rocsolver6v33100L12laswp_kernelI19rocblas_complex_numIfEiPKPS3_EEvT0_T1_lS7_S7_lS7_S7_PKS7_lS7_l.has_dyn_sized_stack, 0
	.set _ZN9rocsolver6v33100L12laswp_kernelI19rocblas_complex_numIfEiPKPS3_EEvT0_T1_lS7_S7_lS7_S7_PKS7_lS7_l.has_recursion, 0
	.set _ZN9rocsolver6v33100L12laswp_kernelI19rocblas_complex_numIfEiPKPS3_EEvT0_T1_lS7_S7_lS7_S7_PKS7_lS7_l.has_indirect_call, 0
	.section	.AMDGPU.csdata,"",@progbits
; Kernel info:
; codeLenInByte = 460
; TotalNumSgprs: 28
; NumVgprs: 12
; ScratchSize: 0
; MemoryBound: 0
; FloatMode: 240
; IeeeMode: 1
; LDSByteSize: 0 bytes/workgroup (compile time only)
; SGPRBlocks: 3
; VGPRBlocks: 2
; NumSGPRsForWavesPerEU: 28
; NumVGPRsForWavesPerEU: 12
; Occupancy: 10
; WaveLimiterHint : 1
; COMPUTE_PGM_RSRC2:SCRATCH_EN: 0
; COMPUTE_PGM_RSRC2:USER_SGPR: 6
; COMPUTE_PGM_RSRC2:TRAP_HANDLER: 0
; COMPUTE_PGM_RSRC2:TGID_X_EN: 1
; COMPUTE_PGM_RSRC2:TGID_Y_EN: 1
; COMPUTE_PGM_RSRC2:TGID_Z_EN: 0
; COMPUTE_PGM_RSRC2:TIDIG_COMP_CNT: 0
	.section	.text._ZN9rocsolver6v33100L12laswp_kernelI19rocblas_complex_numIdEiPKPS3_EEvT0_T1_lS7_S7_lS7_S7_PKS7_lS7_l,"axG",@progbits,_ZN9rocsolver6v33100L12laswp_kernelI19rocblas_complex_numIdEiPKPS3_EEvT0_T1_lS7_S7_lS7_S7_PKS7_lS7_l,comdat
	.globl	_ZN9rocsolver6v33100L12laswp_kernelI19rocblas_complex_numIdEiPKPS3_EEvT0_T1_lS7_S7_lS7_S7_PKS7_lS7_l ; -- Begin function _ZN9rocsolver6v33100L12laswp_kernelI19rocblas_complex_numIdEiPKPS3_EEvT0_T1_lS7_S7_lS7_S7_PKS7_lS7_l
	.p2align	8
	.type	_ZN9rocsolver6v33100L12laswp_kernelI19rocblas_complex_numIdEiPKPS3_EEvT0_T1_lS7_S7_lS7_S7_PKS7_lS7_l,@function
_ZN9rocsolver6v33100L12laswp_kernelI19rocblas_complex_numIdEiPKPS3_EEvT0_T1_lS7_S7_lS7_S7_PKS7_lS7_l: ; @_ZN9rocsolver6v33100L12laswp_kernelI19rocblas_complex_numIdEiPKPS3_EEvT0_T1_lS7_S7_lS7_S7_PKS7_lS7_l
; %bb.0:
	s_load_dword s0, s[6:7], 0x5c
	s_load_dword s1, s[6:7], 0x0
	s_waitcnt lgkmcnt(0)
	s_and_b32 s0, s0, 0xffff
	s_mul_i32 s8, s8, s0
	v_add_u32_e32 v3, s8, v0
	v_cmp_gt_i32_e32 vcc, s1, v3
	s_and_saveexec_b64 s[0:1], vcc
	s_cbranch_execz .LBB3_10
; %bb.1:
	s_mov_b32 s10, s9
	s_load_dwordx4 s[0:3], s[6:7], 0x8
	s_load_dwordx2 s[8:9], s[6:7], 0x28
	s_load_dword s17, s[6:7], 0x40
	s_ashr_i32 s11, s10, 31
	s_lshl_b64 s[12:13], s[10:11], 3
	s_waitcnt lgkmcnt(0)
	s_add_u32 s12, s0, s12
	s_addc_u32 s13, s1, s13
	s_cmp_gt_i32 s17, -1
	s_cbranch_scc0 .LBB3_3
; %bb.2:
	s_add_i32 s14, s9, 1
	s_mov_b32 s15, 1
	s_mov_b32 s16, s8
	s_cbranch_execz .LBB3_4
	s_branch .LBB3_5
.LBB3_3:
                                        ; implicit-def: $sgpr14
	s_mov_b32 s15, 1
	s_mov_b32 s16, s8
.LBB3_4:
	s_mov_b32 s15, -1
	s_add_i32 s14, s8, -1
	s_sub_i32 s17, 0, s17
	s_mov_b32 s16, s9
.LBB3_5:
	s_cmp_eq_u32 s16, s14
	s_cbranch_scc1 .LBB3_10
; %bb.6:
	s_load_dwordx2 s[18:19], s[6:7], 0x48
	s_load_dwordx2 s[24:25], s[12:13], 0x0
	;; [unrolled: 1-line block ×3, first 2 shown]
	s_load_dwordx4 s[20:23], s[6:7], 0x30
	v_mov_b32_e32 v4, 0
	s_waitcnt lgkmcnt(0)
	s_mul_i32 s6, s18, s11
	s_mul_hi_u32 s7, s18, s10
	s_add_i32 s6, s7, s6
	s_mul_i32 s7, s19, s10
	s_add_i32 s7, s6, s7
	s_mul_i32 s6, s18, s10
	s_lshl_b64 s[6:7], s[6:7], 2
	s_add_u32 s9, s20, s6
	s_load_dwordx2 s[10:11], s[4:5], 0x4
	s_addc_u32 s12, s21, s7
	s_lshl_b64 s[6:7], s[22:23], 2
	s_add_u32 s6, s9, s6
	s_addc_u32 s4, s12, s7
	s_lshl_b64 s[2:3], s[2:3], 4
	s_add_u32 s5, s24, s2
	s_addc_u32 s7, s25, s3
	s_waitcnt lgkmcnt(0)
	s_lshr_b32 s2, s10, 16
	s_mul_i32 s2, s2, s11
	v_mul_lo_u32 v0, s2, v0
	v_mul_lo_u32 v3, v3, s1
	s_add_i32 s1, s16, -1
	s_sub_i32 s2, s16, s8
	v_mad_u32_u24 v0, v1, s11, v0
	s_mul_i32 s1, s0, s1
	s_mul_i32 s2, s17, s2
	v_add_lshl_u32 v2, v0, v2, 4
	v_add_u32_e32 v0, s1, v3
	s_mul_i32 s1, s15, s0
	s_add_i32 s2, s8, s2
	s_mul_i32 s8, s17, s15
	s_branch .LBB3_8
.LBB3_7:                                ;   in Loop: Header=BB3_8 Depth=1
	s_add_i32 s16, s16, s15
	s_add_i32 s2, s2, s8
	s_cmp_lg_u32 s14, s16
	v_add_u32_e32 v0, s1, v0
	s_cbranch_scc0 .LBB3_10
.LBB3_8:                                ; =>This Inner Loop Header: Depth=1
	s_ashr_i32 s3, s2, 31
	s_lshl_b64 s[10:11], s[2:3], 2
	s_add_u32 s10, s6, s10
	s_addc_u32 s11, s4, s11
	global_load_dword v5, v4, s[10:11] offset:-4
	s_waitcnt vmcnt(0)
	v_cmp_eq_u32_e32 vcc, s16, v5
	s_cbranch_vccnz .LBB3_7
; %bb.9:                                ;   in Loop: Header=BB3_8 Depth=1
	v_ashrrev_i32_e32 v1, 31, v0
	v_lshlrev_b64 v[6:7], 4, v[0:1]
	v_mov_b32_e32 v1, s7
	v_add_co_u32_e32 v10, vcc, s5, v6
	v_addc_co_u32_e32 v11, vcc, v1, v7, vcc
	flat_load_dwordx4 v[6:9], v[10:11]
	v_add_u32_e32 v1, -1, v5
	v_mul_lo_u32 v1, v1, s0
	v_add_u32_e32 v12, v1, v3
	v_ashrrev_i32_e32 v13, 31, v12
	v_lshlrev_b64 v[12:13], 4, v[12:13]
	v_mov_b32_e32 v1, s7
	v_add_co_u32_e32 v12, vcc, s5, v12
	v_addc_co_u32_e32 v13, vcc, v1, v13, vcc
	s_waitcnt vmcnt(0) lgkmcnt(0)
	ds_write2_b64 v2, v[6:7], v[8:9] offset1:1
	flat_load_dwordx4 v[5:8], v[12:13]
	s_waitcnt vmcnt(0) lgkmcnt(0)
	flat_store_dwordx4 v[10:11], v[5:8]
	ds_read2_b64 v[5:8], v2 offset1:1
	s_waitcnt lgkmcnt(0)
	flat_store_dwordx4 v[12:13], v[5:8]
	s_branch .LBB3_7
.LBB3_10:
	s_endpgm
	.section	.rodata,"a",@progbits
	.p2align	6, 0x0
	.amdhsa_kernel _ZN9rocsolver6v33100L12laswp_kernelI19rocblas_complex_numIdEiPKPS3_EEvT0_T1_lS7_S7_lS7_S7_PKS7_lS7_l
		.amdhsa_group_segment_fixed_size 16384
		.amdhsa_private_segment_fixed_size 0
		.amdhsa_kernarg_size 336
		.amdhsa_user_sgpr_count 8
		.amdhsa_user_sgpr_private_segment_buffer 1
		.amdhsa_user_sgpr_dispatch_ptr 1
		.amdhsa_user_sgpr_queue_ptr 0
		.amdhsa_user_sgpr_kernarg_segment_ptr 1
		.amdhsa_user_sgpr_dispatch_id 0
		.amdhsa_user_sgpr_flat_scratch_init 0
		.amdhsa_user_sgpr_private_segment_size 0
		.amdhsa_uses_dynamic_stack 0
		.amdhsa_system_sgpr_private_segment_wavefront_offset 0
		.amdhsa_system_sgpr_workgroup_id_x 1
		.amdhsa_system_sgpr_workgroup_id_y 1
		.amdhsa_system_sgpr_workgroup_id_z 0
		.amdhsa_system_sgpr_workgroup_info 0
		.amdhsa_system_vgpr_workitem_id 2
		.amdhsa_next_free_vgpr 14
		.amdhsa_next_free_sgpr 26
		.amdhsa_reserve_vcc 1
		.amdhsa_reserve_flat_scratch 0
		.amdhsa_float_round_mode_32 0
		.amdhsa_float_round_mode_16_64 0
		.amdhsa_float_denorm_mode_32 3
		.amdhsa_float_denorm_mode_16_64 3
		.amdhsa_dx10_clamp 1
		.amdhsa_ieee_mode 1
		.amdhsa_fp16_overflow 0
		.amdhsa_exception_fp_ieee_invalid_op 0
		.amdhsa_exception_fp_denorm_src 0
		.amdhsa_exception_fp_ieee_div_zero 0
		.amdhsa_exception_fp_ieee_overflow 0
		.amdhsa_exception_fp_ieee_underflow 0
		.amdhsa_exception_fp_ieee_inexact 0
		.amdhsa_exception_int_div_zero 0
	.end_amdhsa_kernel
	.section	.text._ZN9rocsolver6v33100L12laswp_kernelI19rocblas_complex_numIdEiPKPS3_EEvT0_T1_lS7_S7_lS7_S7_PKS7_lS7_l,"axG",@progbits,_ZN9rocsolver6v33100L12laswp_kernelI19rocblas_complex_numIdEiPKPS3_EEvT0_T1_lS7_S7_lS7_S7_PKS7_lS7_l,comdat
.Lfunc_end3:
	.size	_ZN9rocsolver6v33100L12laswp_kernelI19rocblas_complex_numIdEiPKPS3_EEvT0_T1_lS7_S7_lS7_S7_PKS7_lS7_l, .Lfunc_end3-_ZN9rocsolver6v33100L12laswp_kernelI19rocblas_complex_numIdEiPKPS3_EEvT0_T1_lS7_S7_lS7_S7_PKS7_lS7_l
                                        ; -- End function
	.set _ZN9rocsolver6v33100L12laswp_kernelI19rocblas_complex_numIdEiPKPS3_EEvT0_T1_lS7_S7_lS7_S7_PKS7_lS7_l.num_vgpr, 14
	.set _ZN9rocsolver6v33100L12laswp_kernelI19rocblas_complex_numIdEiPKPS3_EEvT0_T1_lS7_S7_lS7_S7_PKS7_lS7_l.num_agpr, 0
	.set _ZN9rocsolver6v33100L12laswp_kernelI19rocblas_complex_numIdEiPKPS3_EEvT0_T1_lS7_S7_lS7_S7_PKS7_lS7_l.numbered_sgpr, 26
	.set _ZN9rocsolver6v33100L12laswp_kernelI19rocblas_complex_numIdEiPKPS3_EEvT0_T1_lS7_S7_lS7_S7_PKS7_lS7_l.num_named_barrier, 0
	.set _ZN9rocsolver6v33100L12laswp_kernelI19rocblas_complex_numIdEiPKPS3_EEvT0_T1_lS7_S7_lS7_S7_PKS7_lS7_l.private_seg_size, 0
	.set _ZN9rocsolver6v33100L12laswp_kernelI19rocblas_complex_numIdEiPKPS3_EEvT0_T1_lS7_S7_lS7_S7_PKS7_lS7_l.uses_vcc, 1
	.set _ZN9rocsolver6v33100L12laswp_kernelI19rocblas_complex_numIdEiPKPS3_EEvT0_T1_lS7_S7_lS7_S7_PKS7_lS7_l.uses_flat_scratch, 0
	.set _ZN9rocsolver6v33100L12laswp_kernelI19rocblas_complex_numIdEiPKPS3_EEvT0_T1_lS7_S7_lS7_S7_PKS7_lS7_l.has_dyn_sized_stack, 0
	.set _ZN9rocsolver6v33100L12laswp_kernelI19rocblas_complex_numIdEiPKPS3_EEvT0_T1_lS7_S7_lS7_S7_PKS7_lS7_l.has_recursion, 0
	.set _ZN9rocsolver6v33100L12laswp_kernelI19rocblas_complex_numIdEiPKPS3_EEvT0_T1_lS7_S7_lS7_S7_PKS7_lS7_l.has_indirect_call, 0
	.section	.AMDGPU.csdata,"",@progbits
; Kernel info:
; codeLenInByte = 532
; TotalNumSgprs: 30
; NumVgprs: 14
; ScratchSize: 0
; MemoryBound: 0
; FloatMode: 240
; IeeeMode: 1
; LDSByteSize: 16384 bytes/workgroup (compile time only)
; SGPRBlocks: 3
; VGPRBlocks: 3
; NumSGPRsForWavesPerEU: 30
; NumVGPRsForWavesPerEU: 14
; Occupancy: 8
; WaveLimiterHint : 1
; COMPUTE_PGM_RSRC2:SCRATCH_EN: 0
; COMPUTE_PGM_RSRC2:USER_SGPR: 8
; COMPUTE_PGM_RSRC2:TRAP_HANDLER: 0
; COMPUTE_PGM_RSRC2:TGID_X_EN: 1
; COMPUTE_PGM_RSRC2:TGID_Y_EN: 1
; COMPUTE_PGM_RSRC2:TGID_Z_EN: 0
; COMPUTE_PGM_RSRC2:TIDIG_COMP_CNT: 2
	.section	.AMDGPU.gpr_maximums,"",@progbits
	.set amdgpu.max_num_vgpr, 0
	.set amdgpu.max_num_agpr, 0
	.set amdgpu.max_num_sgpr, 0
	.section	.AMDGPU.csdata,"",@progbits
	.type	__hip_cuid_b1dc0b7eac35ffca,@object ; @__hip_cuid_b1dc0b7eac35ffca
	.section	.bss,"aw",@nobits
	.globl	__hip_cuid_b1dc0b7eac35ffca
__hip_cuid_b1dc0b7eac35ffca:
	.byte	0                               ; 0x0
	.size	__hip_cuid_b1dc0b7eac35ffca, 1

	.ident	"AMD clang version 22.0.0git (https://github.com/RadeonOpenCompute/llvm-project roc-7.2.4 26084 f58b06dce1f9c15707c5f808fd002e18c2accf7e)"
	.section	".note.GNU-stack","",@progbits
	.addrsig
	.addrsig_sym __hip_cuid_b1dc0b7eac35ffca
	.amdgpu_metadata
---
amdhsa.kernels:
  - .args:
      - .offset:         0
        .size:           4
        .value_kind:     by_value
      - .address_space:  global
        .offset:         8
        .size:           8
        .value_kind:     global_buffer
      - .offset:         16
        .size:           8
        .value_kind:     by_value
      - .offset:         24
        .size:           4
        .value_kind:     by_value
      - .offset:         28
        .size:           4
        .value_kind:     by_value
      - .offset:         32
        .size:           8
        .value_kind:     by_value
      - .offset:         40
        .size:           4
        .value_kind:     by_value
      - .offset:         44
        .size:           4
        .value_kind:     by_value
      - .address_space:  global
        .offset:         48
        .size:           8
        .value_kind:     global_buffer
      - .offset:         56
        .size:           8
        .value_kind:     by_value
      - .offset:         64
        .size:           4
        .value_kind:     by_value
      - .offset:         72
        .size:           8
        .value_kind:     by_value
      - .offset:         80
        .size:           4
        .value_kind:     hidden_block_count_x
      - .offset:         84
        .size:           4
        .value_kind:     hidden_block_count_y
      - .offset:         88
        .size:           4
        .value_kind:     hidden_block_count_z
      - .offset:         92
        .size:           2
        .value_kind:     hidden_group_size_x
      - .offset:         94
        .size:           2
        .value_kind:     hidden_group_size_y
      - .offset:         96
        .size:           2
        .value_kind:     hidden_group_size_z
      - .offset:         98
        .size:           2
        .value_kind:     hidden_remainder_x
      - .offset:         100
        .size:           2
        .value_kind:     hidden_remainder_y
      - .offset:         102
        .size:           2
        .value_kind:     hidden_remainder_z
      - .offset:         120
        .size:           8
        .value_kind:     hidden_global_offset_x
      - .offset:         128
        .size:           8
        .value_kind:     hidden_global_offset_y
      - .offset:         136
        .size:           8
        .value_kind:     hidden_global_offset_z
      - .offset:         144
        .size:           2
        .value_kind:     hidden_grid_dims
    .group_segment_fixed_size: 0
    .kernarg_segment_align: 8
    .kernarg_segment_size: 336
    .language:       OpenCL C
    .language_version:
      - 2
      - 0
    .max_flat_workgroup_size: 1024
    .name:           _ZN9rocsolver6v33100L12laswp_kernelIfiPKPfEEvT0_T1_lS5_S5_lS5_S5_PKS5_lS5_l
    .private_segment_fixed_size: 0
    .sgpr_count:     28
    .sgpr_spill_count: 0
    .symbol:         _ZN9rocsolver6v33100L12laswp_kernelIfiPKPfEEvT0_T1_lS5_S5_lS5_S5_PKS5_lS5_l.kd
    .uniform_work_group_size: 1
    .uses_dynamic_stack: false
    .vgpr_count:     8
    .vgpr_spill_count: 0
    .wavefront_size: 64
  - .args:
      - .offset:         0
        .size:           4
        .value_kind:     by_value
      - .address_space:  global
        .offset:         8
        .size:           8
        .value_kind:     global_buffer
      - .offset:         16
        .size:           8
        .value_kind:     by_value
      - .offset:         24
        .size:           4
        .value_kind:     by_value
      - .offset:         28
        .size:           4
        .value_kind:     by_value
      - .offset:         32
        .size:           8
        .value_kind:     by_value
      - .offset:         40
        .size:           4
        .value_kind:     by_value
      - .offset:         44
        .size:           4
        .value_kind:     by_value
      - .address_space:  global
        .offset:         48
        .size:           8
        .value_kind:     global_buffer
      - .offset:         56
        .size:           8
        .value_kind:     by_value
      - .offset:         64
        .size:           4
        .value_kind:     by_value
      - .offset:         72
        .size:           8
        .value_kind:     by_value
      - .offset:         80
        .size:           4
        .value_kind:     hidden_block_count_x
      - .offset:         84
        .size:           4
        .value_kind:     hidden_block_count_y
      - .offset:         88
        .size:           4
        .value_kind:     hidden_block_count_z
      - .offset:         92
        .size:           2
        .value_kind:     hidden_group_size_x
      - .offset:         94
        .size:           2
        .value_kind:     hidden_group_size_y
      - .offset:         96
        .size:           2
        .value_kind:     hidden_group_size_z
      - .offset:         98
        .size:           2
        .value_kind:     hidden_remainder_x
      - .offset:         100
        .size:           2
        .value_kind:     hidden_remainder_y
      - .offset:         102
        .size:           2
        .value_kind:     hidden_remainder_z
      - .offset:         120
        .size:           8
        .value_kind:     hidden_global_offset_x
      - .offset:         128
        .size:           8
        .value_kind:     hidden_global_offset_y
      - .offset:         136
        .size:           8
        .value_kind:     hidden_global_offset_z
      - .offset:         144
        .size:           2
        .value_kind:     hidden_grid_dims
    .group_segment_fixed_size: 0
    .kernarg_segment_align: 8
    .kernarg_segment_size: 336
    .language:       OpenCL C
    .language_version:
      - 2
      - 0
    .max_flat_workgroup_size: 1024
    .name:           _ZN9rocsolver6v33100L12laswp_kernelIdiPKPdEEvT0_T1_lS5_S5_lS5_S5_PKS5_lS5_l
    .private_segment_fixed_size: 0
    .sgpr_count:     28
    .sgpr_spill_count: 0
    .symbol:         _ZN9rocsolver6v33100L12laswp_kernelIdiPKPdEEvT0_T1_lS5_S5_lS5_S5_PKS5_lS5_l.kd
    .uniform_work_group_size: 1
    .uses_dynamic_stack: false
    .vgpr_count:     11
    .vgpr_spill_count: 0
    .wavefront_size: 64
  - .args:
      - .offset:         0
        .size:           4
        .value_kind:     by_value
      - .address_space:  global
        .offset:         8
        .size:           8
        .value_kind:     global_buffer
      - .offset:         16
        .size:           8
        .value_kind:     by_value
      - .offset:         24
        .size:           4
        .value_kind:     by_value
      - .offset:         28
        .size:           4
        .value_kind:     by_value
      - .offset:         32
        .size:           8
        .value_kind:     by_value
      - .offset:         40
        .size:           4
        .value_kind:     by_value
      - .offset:         44
        .size:           4
        .value_kind:     by_value
      - .address_space:  global
        .offset:         48
        .size:           8
        .value_kind:     global_buffer
      - .offset:         56
        .size:           8
        .value_kind:     by_value
      - .offset:         64
        .size:           4
        .value_kind:     by_value
      - .offset:         72
        .size:           8
        .value_kind:     by_value
      - .offset:         80
        .size:           4
        .value_kind:     hidden_block_count_x
      - .offset:         84
        .size:           4
        .value_kind:     hidden_block_count_y
      - .offset:         88
        .size:           4
        .value_kind:     hidden_block_count_z
      - .offset:         92
        .size:           2
        .value_kind:     hidden_group_size_x
      - .offset:         94
        .size:           2
        .value_kind:     hidden_group_size_y
      - .offset:         96
        .size:           2
        .value_kind:     hidden_group_size_z
      - .offset:         98
        .size:           2
        .value_kind:     hidden_remainder_x
      - .offset:         100
        .size:           2
        .value_kind:     hidden_remainder_y
      - .offset:         102
        .size:           2
        .value_kind:     hidden_remainder_z
      - .offset:         120
        .size:           8
        .value_kind:     hidden_global_offset_x
      - .offset:         128
        .size:           8
        .value_kind:     hidden_global_offset_y
      - .offset:         136
        .size:           8
        .value_kind:     hidden_global_offset_z
      - .offset:         144
        .size:           2
        .value_kind:     hidden_grid_dims
    .group_segment_fixed_size: 0
    .kernarg_segment_align: 8
    .kernarg_segment_size: 336
    .language:       OpenCL C
    .language_version:
      - 2
      - 0
    .max_flat_workgroup_size: 1024
    .name:           _ZN9rocsolver6v33100L12laswp_kernelI19rocblas_complex_numIfEiPKPS3_EEvT0_T1_lS7_S7_lS7_S7_PKS7_lS7_l
    .private_segment_fixed_size: 0
    .sgpr_count:     28
    .sgpr_spill_count: 0
    .symbol:         _ZN9rocsolver6v33100L12laswp_kernelI19rocblas_complex_numIfEiPKPS3_EEvT0_T1_lS7_S7_lS7_S7_PKS7_lS7_l.kd
    .uniform_work_group_size: 1
    .uses_dynamic_stack: false
    .vgpr_count:     12
    .vgpr_spill_count: 0
    .wavefront_size: 64
  - .args:
      - .offset:         0
        .size:           4
        .value_kind:     by_value
      - .address_space:  global
        .offset:         8
        .size:           8
        .value_kind:     global_buffer
      - .offset:         16
        .size:           8
        .value_kind:     by_value
      - .offset:         24
        .size:           4
        .value_kind:     by_value
      - .offset:         28
        .size:           4
        .value_kind:     by_value
      - .offset:         32
        .size:           8
        .value_kind:     by_value
      - .offset:         40
        .size:           4
        .value_kind:     by_value
      - .offset:         44
        .size:           4
        .value_kind:     by_value
      - .address_space:  global
        .offset:         48
        .size:           8
        .value_kind:     global_buffer
      - .offset:         56
        .size:           8
        .value_kind:     by_value
      - .offset:         64
        .size:           4
        .value_kind:     by_value
      - .offset:         72
        .size:           8
        .value_kind:     by_value
      - .offset:         80
        .size:           4
        .value_kind:     hidden_block_count_x
      - .offset:         84
        .size:           4
        .value_kind:     hidden_block_count_y
      - .offset:         88
        .size:           4
        .value_kind:     hidden_block_count_z
      - .offset:         92
        .size:           2
        .value_kind:     hidden_group_size_x
      - .offset:         94
        .size:           2
        .value_kind:     hidden_group_size_y
      - .offset:         96
        .size:           2
        .value_kind:     hidden_group_size_z
      - .offset:         98
        .size:           2
        .value_kind:     hidden_remainder_x
      - .offset:         100
        .size:           2
        .value_kind:     hidden_remainder_y
      - .offset:         102
        .size:           2
        .value_kind:     hidden_remainder_z
      - .offset:         120
        .size:           8
        .value_kind:     hidden_global_offset_x
      - .offset:         128
        .size:           8
        .value_kind:     hidden_global_offset_y
      - .offset:         136
        .size:           8
        .value_kind:     hidden_global_offset_z
      - .offset:         144
        .size:           2
        .value_kind:     hidden_grid_dims
    .group_segment_fixed_size: 16384
    .kernarg_segment_align: 8
    .kernarg_segment_size: 336
    .language:       OpenCL C
    .language_version:
      - 2
      - 0
    .max_flat_workgroup_size: 1024
    .name:           _ZN9rocsolver6v33100L12laswp_kernelI19rocblas_complex_numIdEiPKPS3_EEvT0_T1_lS7_S7_lS7_S7_PKS7_lS7_l
    .private_segment_fixed_size: 0
    .sgpr_count:     30
    .sgpr_spill_count: 0
    .symbol:         _ZN9rocsolver6v33100L12laswp_kernelI19rocblas_complex_numIdEiPKPS3_EEvT0_T1_lS7_S7_lS7_S7_PKS7_lS7_l.kd
    .uniform_work_group_size: 1
    .uses_dynamic_stack: false
    .vgpr_count:     14
    .vgpr_spill_count: 0
    .wavefront_size: 64
amdhsa.target:   amdgcn-amd-amdhsa--gfx906
amdhsa.version:
  - 1
  - 2
...

	.end_amdgpu_metadata
